;; amdgpu-corpus repo=ROCm/rocFFT kind=compiled arch=gfx1030 opt=O3
	.text
	.amdgcn_target "amdgcn-amd-amdhsa--gfx1030"
	.amdhsa_code_object_version 6
	.protected	fft_rtc_fwd_len192_factors_6_4_4_2_wgs_256_tpt_32_sp_op_CI_CI_sbrc_z_xy_diag_dirReg ; -- Begin function fft_rtc_fwd_len192_factors_6_4_4_2_wgs_256_tpt_32_sp_op_CI_CI_sbrc_z_xy_diag_dirReg
	.globl	fft_rtc_fwd_len192_factors_6_4_4_2_wgs_256_tpt_32_sp_op_CI_CI_sbrc_z_xy_diag_dirReg
	.p2align	8
	.type	fft_rtc_fwd_len192_factors_6_4_4_2_wgs_256_tpt_32_sp_op_CI_CI_sbrc_z_xy_diag_dirReg,@function
fft_rtc_fwd_len192_factors_6_4_4_2_wgs_256_tpt_32_sp_op_CI_CI_sbrc_z_xy_diag_dirReg: ; @fft_rtc_fwd_len192_factors_6_4_4_2_wgs_256_tpt_32_sp_op_CI_CI_sbrc_z_xy_diag_dirReg
; %bb.0:
	s_load_dwordx8 s[8:15], s[4:5], 0x0
	v_mov_b32_e32 v1, 0x156
	v_or_b32_e32 v5, 0x100, v0
	v_mov_b32_e32 v3, 0x2ab
	v_mul_u32_u24_e32 v4, 0x156, v0
	v_or_b32_e32 v6, 0x200, v0
	v_or_b32_e32 v7, 0x300, v0
	v_mul_u32_u24_sdwa v1, v5, v1 dst_sel:DWORD dst_unused:UNUSED_PAD src0_sel:WORD_0 src1_sel:DWORD
	v_or_b32_e32 v8, 0x400, v0
	v_or_b32_e32 v9, 0x500, v0
	v_lshrrev_b32_e32 v25, 16, v4
	v_mul_u32_u24_sdwa v4, v6, v3 dst_sel:DWORD dst_unused:UNUSED_PAD src0_sel:WORD_0 src1_sel:DWORD
	v_lshrrev_b32_e32 v26, 16, v1
	v_mul_u32_u24_sdwa v10, v7, v3 dst_sel:DWORD dst_unused:UNUSED_PAD src0_sel:WORD_0 src1_sel:DWORD
	v_mul_u32_u24_sdwa v11, v8, v3 dst_sel:DWORD dst_unused:UNUSED_PAD src0_sel:WORD_0 src1_sel:DWORD
	;; [unrolled: 1-line block ×3, first 2 shown]
	v_lshrrev_b32_e32 v27, 17, v4
	v_mul_lo_u16 v13, 0xc0, v25
	v_lshrrev_b32_e32 v28, 17, v10
	v_lshrrev_b32_e32 v29, 17, v11
	s_waitcnt lgkmcnt(0)
	s_load_dwordx4 s[0:3], s[12:13], 0x8
	s_clause 0x1
	s_load_dwordx2 s[16:17], s[4:5], 0x58
	s_load_dwordx2 s[12:13], s[4:5], 0x20
	v_lshrrev_b32_e32 v30, 17, v3
	v_mul_lo_u16 v3, 0xc0, v26
	v_mul_lo_u16 v4, 0xc0, v27
	v_sub_nc_u16 v31, v0, v13
	v_mul_lo_u16 v10, 0xc0, v28
	v_mul_lo_u16 v11, 0xc0, v29
	v_sub_nc_u16 v32, v5, v3
	v_sub_nc_u16 v33, v6, v4
	v_and_b32_e32 v15, 0xffff, v31
	v_sub_nc_u16 v34, v7, v10
	v_sub_nc_u16 v35, v8, v11
	v_and_b32_e32 v17, 0xffff, v32
	v_and_b32_e32 v18, 0xffff, v33
	v_mov_b32_e32 v2, 0
	v_and_b32_e32 v19, 0xffff, v34
	v_and_b32_e32 v23, 0xffff, v35
	s_mov_b32 s7, 0
	s_waitcnt lgkmcnt(0)
	s_add_i32 s0, s0, -1
	s_lshr_b32 s0, s0, 3
	s_add_i32 s0, s0, 1
	s_mul_i32 s19, s0, s2
	s_load_dwordx4 s[0:3], s[14:15], 0x0
	v_cvt_f32_u32_e32 v12, s19
	s_sub_i32 s20, 0, s19
	s_waitcnt lgkmcnt(0)
	s_load_dword s3, s[14:15], 0x10
	v_rcp_iflag_f32_e32 v1, v12
	v_mul_lo_u16 v12, 0xc0, v30
	v_sub_nc_u16 v36, v9, v12
	v_mul_f32_e32 v1, 0x4f7ffffe, v1
	v_and_b32_e32 v37, 0xffff, v36
	v_mad_u64_u32 v[3:4], null, s0, v15, 0
	v_cvt_u32_f32_e32 v1, v1
	v_mad_u64_u32 v[5:6], null, s0, v17, 0
	v_mad_u64_u32 v[7:8], null, s0, v18, 0
	v_readfirstlane_b32 s18, v1
	v_mad_u64_u32 v[9:10], null, s0, v19, 0
	v_mul_lo_u32 v1, s2, v25
	v_mad_u64_u32 v[15:16], null, s1, v15, v[4:5]
	s_mul_i32 s20, s20, s18
	v_mad_u64_u32 v[16:17], null, s1, v17, v[6:7]
	s_mul_hi_u32 s20, s18, s20
	v_mad_u64_u32 v[17:18], null, s1, v18, v[8:9]
	s_add_i32 s18, s18, s20
	v_mad_u64_u32 v[11:12], null, s0, v23, 0
	s_mul_hi_u32 s18, s6, s18
	v_mad_u64_u32 v[21:22], null, s0, v37, 0
	s_mul_i32 s20, s18, s19
	s_add_i32 s21, s18, 1
	s_sub_i32 s20, s6, s20
	v_mov_b32_e32 v4, v15
	s_sub_i32 s22, s20, s19
	s_cmp_ge_u32 s20, s19
	v_mov_b32_e32 v6, v16
	s_cselect_b32 s18, s21, s18
	s_cselect_b32 s20, s22, s20
	s_add_i32 s21, s18, 1
	s_cmp_ge_u32 s20, s19
	v_lshlrev_b64 v[13:14], 3, v[1:2]
	s_cselect_b32 s18, s21, s18
	s_lshl_b64 s[10:11], s[10:11], 3
	s_mul_i32 s19, s18, s19
	v_mul_lo_u32 v1, s2, v26
	s_sub_i32 s6, s6, s19
	v_lshlrev_b64 v[3:4], 3, v[3:4]
	s_and_b32 s19, s6, 31
	s_lshr_b32 s6, s6, 5
	v_mov_b32_e32 v8, v17
	s_add_i32 s6, s6, s19
	s_lshl_b32 s19, s19, 3
	s_mul_hi_u32 s20, s6, 0xaaaaaab
	v_lshlrev_b64 v[5:6], 3, v[5:6]
	s_lshr_b32 s20, s20, 3
	v_mad_u64_u32 v[18:19], null, s1, v19, v[10:11]
	s_mulk_i32 s20, 0xc0
	v_lshlrev_b64 v[7:8], 3, v[7:8]
	s_sub_i32 s20, s6, s20
	s_mul_i32 s6, s19, s2
	s_waitcnt lgkmcnt(0)
	s_mul_i32 s3, s20, s3
	v_lshlrev_b64 v[19:20], 3, v[1:2]
	s_add_i32 s6, s3, s6
	s_add_u32 s14, s14, s10
	s_addc_u32 s15, s15, s11
	v_mul_lo_u32 v1, s2, v27
	s_load_dwordx2 s[14:15], s[14:15], 0x0
	v_mad_u64_u32 v[23:24], null, s1, v23, v[12:13]
	v_mov_b32_e32 v10, v18
	v_lshlrev_b64 v[15:16], 3, v[1:2]
	v_mul_lo_u32 v1, s2, v28
	s_waitcnt lgkmcnt(0)
	s_mul_i32 s0, s15, s18
	s_mul_hi_u32 s3, s14, s18
	s_mul_i32 s14, s14, s18
	s_add_i32 s15, s3, s0
	s_add_u32 s10, s12, s10
	s_addc_u32 s11, s13, s11
	s_lshl_b64 s[14:15], s[14:15], 3
	s_add_u32 s0, s16, s14
	s_addc_u32 s3, s17, s15
	s_lshl_b64 s[6:7], s[6:7], 3
	s_add_u32 s0, s0, s6
	s_addc_u32 s3, s3, s7
	v_add_co_u32 v3, vcc_lo, s0, v3
	v_add_co_ci_u32_e32 v4, vcc_lo, s3, v4, vcc_lo
	v_add_co_u32 v5, vcc_lo, s0, v5
	v_add_co_ci_u32_e32 v6, vcc_lo, s3, v6, vcc_lo
	;; [unrolled: 2-line block ×6, first 2 shown]
	v_lshlrev_b64 v[8:9], 3, v[9:10]
	v_mov_b32_e32 v7, v22
	v_lshlrev_b64 v[15:16], 3, v[1:2]
	v_mul_lo_u32 v1, s2, v29
	v_mov_b32_e32 v12, v23
	v_lshrrev_b32_e32 v20, 3, v0
	v_mad_u64_u32 v[17:18], null, s1, v37, v[7:8]
	v_add_co_u32 v10, vcc_lo, s0, v8
	v_add_co_ci_u32_e32 v18, vcc_lo, s3, v9, vcc_lo
	v_lshlrev_b64 v[7:8], 3, v[11:12]
	v_add_co_u32 v9, vcc_lo, v10, v15
	v_mov_b32_e32 v22, v17
	v_lshlrev_b64 v[11:12], 3, v[1:2]
	v_mul_lo_u32 v1, s2, v30
	v_add_co_ci_u32_e32 v10, vcc_lo, v18, v16, vcc_lo
	v_lshlrev_b64 v[15:16], 3, v[21:22]
	v_add_co_u32 v7, vcc_lo, s0, v7
	v_add_co_ci_u32_e32 v8, vcc_lo, s3, v8, vcc_lo
	v_lshlrev_b64 v[1:2], 3, v[1:2]
	v_add_co_u32 v15, vcc_lo, s0, v15
	v_add_co_ci_u32_e32 v16, vcc_lo, s3, v16, vcc_lo
	v_add_co_u32 v7, vcc_lo, v7, v11
	v_add_co_ci_u32_e32 v8, vcc_lo, v8, v12, vcc_lo
	;; [unrolled: 2-line block ×3, first 2 shown]
	s_clause 0x5
	global_load_dwordx2 v[3:4], v[3:4], off
	global_load_dwordx2 v[5:6], v[5:6], off
	;; [unrolled: 1-line block ×6, first 2 shown]
	v_and_b32_e32 v19, 7, v0
	v_lshlrev_b32_e32 v13, 6, v20
	v_lshlrev_b16 v14, 3, v31
	v_lshlrev_b16 v15, 3, v33
	;; [unrolled: 1-line block ×3, first 2 shown]
	v_lshlrev_b32_e32 v17, 3, v19
	v_lshlrev_b16 v21, 3, v35
	v_lshlrev_b16 v22, 3, v36
	v_or_b32_e32 v15, v15, v27
	v_or_b32_e32 v16, v16, v28
	v_add3_u32 v18, 0, v13, v17
	v_or_b32_e32 v13, v14, v25
	v_lshlrev_b16 v14, 3, v32
	v_or_b32_e32 v21, v21, v29
	v_or_b32_e32 v22, v22, v30
	v_and_b32_e32 v15, 0xffff, v15
	v_and_b32_e32 v13, 0xffff, v13
	v_or_b32_e32 v14, v14, v26
	v_and_b32_e32 v16, 0xffff, v16
	v_and_b32_e32 v21, 0xffff, v21
	;; [unrolled: 1-line block ×3, first 2 shown]
	v_lshl_add_u32 v13, v13, 3, 0
	v_and_b32_e32 v14, 0xffff, v14
	v_lshl_add_u32 v15, v15, 3, 0
	v_lshl_add_u32 v16, v16, 3, 0
	;; [unrolled: 1-line block ×3, first 2 shown]
	s_clause 0x1
	s_load_dwordx4 s[0:3], s[12:13], 0x0
	s_load_dwordx2 s[6:7], s[12:13], 0x10
	v_lshl_add_u32 v14, v14, 3, 0
	v_lshl_add_u32 v22, v22, 3, 0
	s_load_dwordx2 s[10:11], s[10:11], 0x0
	v_cmp_gt_u32_e32 vcc_lo, 0x80, v0
	s_waitcnt vmcnt(5)
	ds_write_b64 v13, v[3:4]
	s_waitcnt vmcnt(4)
	ds_write_b64 v14, v[5:6]
	;; [unrolled: 2-line block ×6, first 2 shown]
	s_waitcnt lgkmcnt(0)
	s_barrier
	buffer_gl0_inv
	ds_read2st64_b64 v[1:4], v18 offset1:4
	ds_read2st64_b64 v[5:8], v18 offset0:8 offset1:12
	ds_read2st64_b64 v[9:12], v18 offset0:16 offset1:20
	v_mad_u32_u24 v15, 0x140, v20, v18
	s_waitcnt lgkmcnt(0)
	s_barrier
	buffer_gl0_inv
	v_add_f32_e32 v13, v1, v5
	v_add_f32_e32 v23, v7, v11
	v_sub_f32_e32 v24, v8, v12
	v_add_f32_e32 v25, v4, v8
	v_add_f32_e32 v8, v8, v12
	;; [unrolled: 1-line block ×4, first 2 shown]
	v_sub_f32_e32 v5, v5, v9
	v_add_f32_e32 v22, v3, v7
	v_sub_f32_e32 v7, v7, v11
	v_add_f32_e32 v9, v13, v9
	v_fma_f32 v13, -0.5, v23, v3
	v_fmac_f32_e32 v4, -0.5, v8
	v_sub_f32_e32 v16, v6, v10
	v_add_f32_e32 v6, v6, v10
	v_add_f32_e32 v10, v21, v10
	v_fmamk_f32 v8, v24, 0x3f5db3d7, v13
	v_fmamk_f32 v21, v7, 0xbf5db3d7, v4
	v_fmac_f32_e32 v13, 0xbf5db3d7, v24
	v_fmac_f32_e32 v4, 0x3f5db3d7, v7
	v_fma_f32 v1, -0.5, v14, v1
	v_fma_f32 v2, -0.5, v6, v2
	v_add_f32_e32 v11, v22, v11
	v_mul_f32_e32 v22, 0x3f5db3d7, v21
	v_mul_f32_e32 v24, 0xbf5db3d7, v8
	v_add_f32_e32 v12, v25, v12
	v_mul_f32_e32 v23, -0.5, v13
	v_mul_f32_e32 v25, -0.5, v4
	v_fmamk_f32 v14, v16, 0x3f5db3d7, v1
	v_fmac_f32_e32 v1, 0xbf5db3d7, v16
	v_fmamk_f32 v16, v5, 0xbf5db3d7, v2
	v_fmac_f32_e32 v22, 0.5, v8
	v_fmac_f32_e32 v24, 0.5, v21
	v_fmac_f32_e32 v2, 0x3f5db3d7, v5
	v_fmac_f32_e32 v23, 0x3f5db3d7, v4
	v_fmac_f32_e32 v25, 0xbf5db3d7, v13
	v_add_f32_e32 v5, v9, v11
	v_add_f32_e32 v6, v10, v12
	v_add_f32_e32 v7, v14, v22
	v_add_f32_e32 v8, v16, v24
	v_sub_f32_e32 v3, v9, v11
	v_sub_f32_e32 v4, v10, v12
	v_add_f32_e32 v9, v1, v23
	v_add_f32_e32 v10, v2, v25
	v_sub_f32_e32 v13, v14, v22
	v_sub_f32_e32 v1, v1, v23
	;; [unrolled: 1-line block ×4, first 2 shown]
	ds_write2_b64 v15, v[5:6], v[7:8] offset1:8
	ds_write2_b64 v15, v[9:10], v[3:4] offset0:16 offset1:24
	ds_write2_b64 v15, v[13:14], v[1:2] offset0:32 offset1:40
	s_waitcnt lgkmcnt(0)
	s_barrier
	buffer_gl0_inv
	ds_read2st64_b64 v[5:8], v18 offset1:6
	ds_read2st64_b64 v[9:12], v18 offset0:12 offset1:18
	v_or_b32_e32 v21, 32, v20
                                        ; implicit-def: $vgpr16
	v_lshlrev_b32_e32 v22, 6, v21
	s_and_saveexec_b32 s3, vcc_lo
	s_cbranch_execz .LBB0_2
; %bb.1:
	v_add3_u32 v13, 0, v22, v17
	ds_read2st64_b64 v[1:4], v18 offset0:10 offset1:16
	ds_read_b64 v[13:14], v13
	ds_read_b64 v[15:16], v18 offset:11264
.LBB0_2:
	s_or_b32 exec_lo, exec_lo, s3
	v_mul_lo_u16 v23, v20, 43
	v_mul_lo_u16 v24, v21, 43
	v_mov_b32_e32 v30, 3
	v_mov_b32_e32 v40, 24
	v_lshrrev_b16 v38, 8, v23
	v_lshrrev_b16 v23, 8, v24
	v_mul_lo_u16 v25, v38, 6
	v_mul_u32_u24_sdwa v38, v38, v40 dst_sel:DWORD dst_unused:UNUSED_PAD src0_sel:WORD_0 src1_sel:DWORD
	v_sub_nc_u16 v39, v20, v25
	v_mul_lo_u16 v25, v23, 6
	v_mul_u32_u24_sdwa v26, v39, v30 dst_sel:DWORD dst_unused:UNUSED_PAD src0_sel:BYTE_0 src1_sel:DWORD
	v_sub_nc_u16 v25, v21, v25
	v_or_b32_sdwa v38, v38, v39 dst_sel:DWORD dst_unused:UNUSED_PAD src0_sel:DWORD src1_sel:BYTE_0
	v_lshlrev_b32_e32 v31, 3, v26
	v_mul_lo_u16 v32, v25, 3
	v_lshlrev_b32_e32 v38, 6, v38
	global_load_dwordx4 v[26:29], v31, s[8:9]
	v_lshlrev_b32_sdwa v36, v30, v32 dst_sel:DWORD dst_unused:UNUSED_PAD src0_sel:DWORD src1_sel:BYTE_0
	v_add3_u32 v38, 0, v38, v17
	s_clause 0x2
	global_load_dwordx2 v[34:35], v31, s[8:9] offset:16
	global_load_dwordx4 v[30:33], v36, s[8:9]
	global_load_dwordx2 v[36:37], v36, s[8:9] offset:16
	s_waitcnt vmcnt(0) lgkmcnt(0)
	s_barrier
	buffer_gl0_inv
	v_mul_f32_e32 v39, v27, v8
	v_mul_f32_e32 v27, v27, v7
	;; [unrolled: 1-line block ×12, first 2 shown]
	v_fma_f32 v7, v26, v7, -v39
	v_fmac_f32_e32 v27, v26, v8
	v_fma_f32 v8, v28, v9, -v40
	v_fmac_f32_e32 v29, v28, v10
	;; [unrolled: 2-line block ×6, first 2 shown]
	v_sub_f32_e32 v4, v5, v8
	v_sub_f32_e32 v10, v6, v29
	;; [unrolled: 1-line block ×8, first 2 shown]
	v_fma_f32 v26, v5, 2.0, -v4
	v_fma_f32 v28, v6, 2.0, -v10
	;; [unrolled: 1-line block ×4, first 2 shown]
	v_sub_f32_e32 v5, v4, v9
	v_fma_f32 v13, v13, 2.0, -v2
	v_fma_f32 v14, v14, 2.0, -v11
	;; [unrolled: 1-line block ×4, first 2 shown]
	v_add_f32_e32 v6, v10, v8
	v_sub_f32_e32 v15, v2, v12
	v_add_f32_e32 v16, v11, v3
	v_sub_f32_e32 v7, v26, v7
	v_sub_f32_e32 v8, v28, v27
	v_fma_f32 v9, v4, 2.0, -v5
	v_sub_f32_e32 v3, v13, v1
	v_sub_f32_e32 v4, v14, v29
	v_fma_f32 v10, v10, 2.0, -v6
	v_fma_f32 v1, v2, 2.0, -v15
	;; [unrolled: 1-line block ×7, first 2 shown]
	ds_write2_b64 v38, v[11:12], v[9:10] offset1:48
	ds_write2_b64 v38, v[7:8], v[5:6] offset0:96 offset1:144
	s_and_saveexec_b32 s3, vcc_lo
	s_cbranch_execz .LBB0_4
; %bb.3:
	v_mul_lo_u16 v5, v23, 24
	v_mov_b32_e32 v6, 6
	v_or_b32_e32 v5, v5, v25
	v_lshlrev_b32_sdwa v5, v6, v5 dst_sel:DWORD dst_unused:UNUSED_PAD src0_sel:DWORD src1_sel:BYTE_0
	v_add3_u32 v5, 0, v5, v17
	ds_write2_b64 v5, v[13:14], v[1:2] offset1:48
	ds_write2_b64 v5, v[3:4], v[15:16] offset0:96 offset1:144
.LBB0_4:
	s_or_b32 exec_lo, exec_lo, s3
	s_load_dwordx2 s[4:5], s[4:5], 0x60
	s_waitcnt lgkmcnt(0)
	s_barrier
	buffer_gl0_inv
	ds_read2st64_b64 v[5:8], v18 offset1:6
	ds_read2st64_b64 v[9:12], v18 offset0:12 offset1:18
	v_and_b32_e32 v23, 0xf8, v0
	v_lshl_add_u32 v23, v23, 3, 0
	s_and_saveexec_b32 s3, vcc_lo
	s_cbranch_execz .LBB0_6
; %bb.5:
	v_add_nc_u32_e32 v15, v23, v17
	v_add3_u32 v13, 0, v22, v17
	ds_read2st64_b64 v[1:4], v15 offset0:10 offset1:16
	ds_read_b64 v[13:14], v13
	ds_read_b64 v[15:16], v15 offset:11264
.LBB0_6:
	s_or_b32 exec_lo, exec_lo, s3
	v_mul_lo_u16 v25, v20, 11
	v_mov_b32_e32 v34, 0x60
	v_lshrrev_b16 v32, 8, v25
	v_mov_b32_e32 v25, 3
	v_mul_lo_u16 v26, v32, 24
	v_sub_nc_u16 v33, v20, v26
	v_mul_u32_u24_sdwa v26, v33, v25 dst_sel:DWORD dst_unused:UNUSED_PAD src0_sel:BYTE_0 src1_sel:DWORD
	v_lshlrev_b32_e32 v30, 3, v26
	s_clause 0x1
	global_load_dwordx4 v[26:29], v30, s[8:9] offset:144
	global_load_dwordx2 v[30:31], v30, s[8:9] offset:160
	s_waitcnt vmcnt(0) lgkmcnt(0)
	s_barrier
	buffer_gl0_inv
	v_mul_f32_e32 v35, v27, v8
	v_mul_f32_e32 v27, v27, v7
	;; [unrolled: 1-line block ×6, first 2 shown]
	v_fma_f32 v7, v26, v7, -v35
	v_fmac_f32_e32 v27, v26, v8
	v_fma_f32 v8, v28, v9, -v36
	v_fmac_f32_e32 v29, v28, v10
	;; [unrolled: 2-line block ×3, first 2 shown]
	v_mul_u32_u24_sdwa v10, v32, v34 dst_sel:DWORD dst_unused:UNUSED_PAD src0_sel:WORD_0 src1_sel:DWORD
	v_sub_f32_e32 v11, v5, v8
	v_sub_f32_e32 v12, v6, v29
	;; [unrolled: 1-line block ×4, first 2 shown]
	v_or_b32_sdwa v10, v10, v33 dst_sel:DWORD dst_unused:UNUSED_PAD src0_sel:DWORD src1_sel:BYTE_0
	v_fma_f32 v26, v5, 2.0, -v11
	v_fma_f32 v28, v6, 2.0, -v12
	;; [unrolled: 1-line block ×4, first 2 shown]
	v_lshlrev_b32_e32 v10, 6, v10
	v_sub_f32_e32 v5, v11, v9
	v_add_f32_e32 v6, v12, v8
	v_sub_f32_e32 v7, v26, v7
	v_sub_f32_e32 v8, v28, v27
	v_add3_u32 v27, 0, v10, v17
	v_fma_f32 v9, v11, 2.0, -v5
	v_fma_f32 v10, v12, 2.0, -v6
	;; [unrolled: 1-line block ×4, first 2 shown]
	ds_write2st64_b64 v27, v[11:12], v[9:10] offset1:3
	ds_write2st64_b64 v27, v[7:8], v[5:6] offset0:6 offset1:9
	s_and_saveexec_b32 s3, vcc_lo
	s_cbranch_execz .LBB0_8
; %bb.7:
	v_lshrrev_b16 v5, 10, v24
	v_mul_lo_u16 v5, v5, 24
	v_sub_nc_u16 v11, v21, v5
	v_mul_u32_u24_sdwa v5, v11, v25 dst_sel:DWORD dst_unused:UNUSED_PAD src0_sel:BYTE_0 src1_sel:DWORD
	v_lshlrev_b32_e32 v9, 3, v5
	s_clause 0x1
	global_load_dwordx4 v[5:8], v9, s[8:9] offset:144
	global_load_dwordx2 v[9:10], v9, s[8:9] offset:160
	s_waitcnt vmcnt(1)
	v_mul_f32_e32 v12, v3, v8
	v_mul_f32_e32 v24, v2, v6
	s_waitcnt vmcnt(0)
	v_mul_f32_e32 v25, v16, v10
	v_mul_f32_e32 v6, v1, v6
	;; [unrolled: 1-line block ×4, first 2 shown]
	v_fmac_f32_e32 v12, v4, v7
	v_fma_f32 v1, v1, v5, -v24
	v_fmac_f32_e32 v6, v2, v5
	v_fmac_f32_e32 v10, v16, v9
	v_fma_f32 v2, v3, v7, -v8
	v_fma_f32 v3, v15, v9, -v25
	v_sub_f32_e32 v5, v14, v12
	v_sub_f32_e32 v4, v6, v10
	;; [unrolled: 1-line block ×4, first 2 shown]
	v_mov_b32_e32 v3, 6
	v_fma_f32 v8, v14, 2.0, -v5
	v_fma_f32 v6, v6, 2.0, -v4
	;; [unrolled: 1-line block ×4, first 2 shown]
	v_lshlrev_b32_sdwa v11, v3, v11 dst_sel:DWORD dst_unused:UNUSED_PAD src0_sel:DWORD src1_sel:BYTE_0
	v_add_f32_e32 v2, v5, v2
	v_sub_f32_e32 v1, v7, v4
	v_sub_f32_e32 v4, v8, v6
	;; [unrolled: 1-line block ×3, first 2 shown]
	v_add3_u32 v10, 0, v11, v17
	v_fma_f32 v6, v5, 2.0, -v2
	v_fma_f32 v5, v7, 2.0, -v1
	;; [unrolled: 1-line block ×4, first 2 shown]
	ds_write2st64_b64 v10, v[7:8], v[5:6] offset0:12 offset1:15
	ds_write2st64_b64 v10, v[3:4], v[1:2] offset0:18 offset1:21
.LBB0_8:
	s_or_b32 exec_lo, exec_lo, s3
	v_or_b32_e32 v1, 0xffffffa0, v20
	v_cmp_gt_u32_e32 vcc_lo, 0x300, v0
	v_or_b32_e32 v2, 0xffffffc0, v20
	v_mov_b32_e32 v9, 0
	v_or_b32_e32 v28, 64, v20
	v_or_b32_e32 v5, 0xffffffe0, v20
	v_cndmask_b32_e32 v8, v1, v20, vcc_lo
	v_cmp_gt_u32_e32 vcc_lo, 0x200, v0
	v_mov_b32_e32 v11, v9
	v_mov_b32_e32 v12, v9
	s_waitcnt lgkmcnt(0)
	s_barrier
	v_cndmask_b32_e32 v10, v2, v21, vcc_lo
	v_cmp_gt_u32_e32 vcc_lo, 0x100, v0
	v_lshlrev_b64 v[1:2], 3, v[8:9]
	buffer_gl0_inv
	v_or_b32_e32 v26, s19, v19
	v_lshlrev_b64 v[3:4], 3, v[10:11]
	v_cndmask_b32_e32 v11, v5, v28, vcc_lo
	v_sub_nc_u32_e32 v10, v21, v10
	v_add_co_u32 v1, vcc_lo, s8, v1
	v_add_co_ci_u32_e32 v2, vcc_lo, s9, v2, vcc_lo
	v_lshlrev_b64 v[5:6], 3, v[11:12]
	v_add_co_u32 v3, vcc_lo, s8, v3
	v_add_co_ci_u32_e32 v4, vcc_lo, s9, v4, vcc_lo
	v_mad_u64_u32 v[19:20], null, s0, v26, 0
	v_add_co_u32 v5, vcc_lo, s8, v5
	v_add_co_ci_u32_e32 v6, vcc_lo, s9, v6, vcc_lo
	s_clause 0x2
	global_load_dwordx2 v[12:13], v[1:2], off offset:720
	global_load_dwordx2 v[14:15], v[3:4], off offset:720
	;; [unrolled: 1-line block ×3, first 2 shown]
	v_cmp_lt_u32_e32 vcc_lo, 0x2ff, v0
	v_mov_b32_e32 v16, v20
	ds_read2st64_b64 v[0:3], v18 offset1:12
	v_add3_u32 v18, 0, v22, v17
	v_add_nc_u32_e32 v5, v23, v17
	v_cndmask_b32_e64 v4, 0, 0xc0, vcc_lo
	v_mad_u64_u32 v[22:23], null, s1, v26, v[16:17]
	s_mul_i32 s7, s11, s18
	s_mul_hi_u32 s9, s10, s18
	v_add_nc_u32_e32 v4, v8, v4
	s_add_i32 s9, s9, s7
	s_mul_i32 s7, s6, 0x60
	v_add_nc_u32_e32 v10, v10, v21
	v_mov_b32_e32 v20, v22
	v_mul_lo_u32 v8, v4, s6
	s_mul_i32 s8, s10, s18
	s_mul_i32 s2, s20, s2
	s_lshl_b64 s[8:9], s[8:9], 3
	s_mov_b32 s3, 0
	v_sub_nc_u32_e32 v29, v28, v11
	s_add_u32 s4, s4, s8
	s_addc_u32 s5, s5, s9
	v_lshlrev_b64 v[26:27], 3, v[8:9]
	v_add_nc_u32_e32 v8, s7, v8
	s_lshl_b64 s[0:1], s[2:3], 3
	v_lshlrev_b32_e32 v16, 6, v28
	s_add_u32 s0, s4, s0
	s_addc_u32 s1, s5, s1
	v_lshlrev_b64 v[21:22], 3, v[8:9]
	v_mul_lo_u32 v8, v10, s6
	v_lshlrev_b64 v[10:11], 3, v[19:20]
	v_add_nc_u32_e32 v20, v29, v28
	ds_read2st64_b64 v[4:7], v5 offset0:16 offset1:20
	v_add3_u32 v23, 0, v16, v17
	ds_read_b64 v[16:17], v18
	ds_read_b64 v[18:19], v23
	v_lshlrev_b64 v[28:29], 3, v[8:9]
	v_add_nc_u32_e32 v8, s7, v8
	v_add_co_u32 v30, vcc_lo, s0, v10
	v_add_co_ci_u32_e32 v31, vcc_lo, s1, v11, vcc_lo
	v_lshlrev_b64 v[10:11], 3, v[8:9]
	v_mul_lo_u32 v8, v20, s6
	v_add_co_u32 v26, vcc_lo, v30, v26
	v_add_co_ci_u32_e32 v27, vcc_lo, v31, v27, vcc_lo
	v_add_co_u32 v20, vcc_lo, v30, v21
	v_add_co_ci_u32_e32 v21, vcc_lo, v31, v22, vcc_lo
	;; [unrolled: 2-line block ×3, first 2 shown]
	v_lshlrev_b64 v[28:29], 3, v[8:9]
	v_add_nc_u32_e32 v8, s7, v8
	v_add_co_u32 v10, vcc_lo, v30, v10
	v_add_co_ci_u32_e32 v11, vcc_lo, v31, v11, vcc_lo
	v_lshlrev_b64 v[8:9], 3, v[8:9]
	v_add_co_u32 v28, vcc_lo, v30, v28
	v_add_co_ci_u32_e32 v29, vcc_lo, v31, v29, vcc_lo
	v_add_co_u32 v8, vcc_lo, v30, v8
	v_add_co_ci_u32_e32 v9, vcc_lo, v31, v9, vcc_lo
	s_waitcnt vmcnt(2) lgkmcnt(3)
	v_mul_f32_e32 v30, v13, v3
	v_mul_f32_e32 v13, v13, v2
	s_waitcnt vmcnt(1) lgkmcnt(2)
	v_mul_f32_e32 v31, v15, v5
	v_mul_f32_e32 v15, v15, v4
	s_waitcnt vmcnt(0)
	v_mul_f32_e32 v32, v25, v7
	v_mul_f32_e32 v25, v25, v6
	v_fma_f32 v2, v12, v2, -v30
	v_fmac_f32_e32 v13, v12, v3
	v_fma_f32 v4, v14, v4, -v31
	v_fmac_f32_e32 v15, v14, v5
	;; [unrolled: 2-line block ×3, first 2 shown]
	v_sub_f32_e32 v2, v0, v2
	v_sub_f32_e32 v3, v1, v13
	s_waitcnt lgkmcnt(1)
	v_sub_f32_e32 v4, v16, v4
	v_sub_f32_e32 v5, v17, v15
	s_waitcnt lgkmcnt(0)
	v_sub_f32_e32 v6, v18, v6
	v_sub_f32_e32 v7, v19, v25
	v_fma_f32 v0, v0, 2.0, -v2
	v_fma_f32 v1, v1, 2.0, -v3
	;; [unrolled: 1-line block ×6, first 2 shown]
	global_store_dwordx2 v[26:27], v[0:1], off
	global_store_dwordx2 v[20:21], v[2:3], off
	;; [unrolled: 1-line block ×6, first 2 shown]
	s_endpgm
	.section	.rodata,"a",@progbits
	.p2align	6, 0x0
	.amdhsa_kernel fft_rtc_fwd_len192_factors_6_4_4_2_wgs_256_tpt_32_sp_op_CI_CI_sbrc_z_xy_diag_dirReg
		.amdhsa_group_segment_fixed_size 0
		.amdhsa_private_segment_fixed_size 0
		.amdhsa_kernarg_size 104
		.amdhsa_user_sgpr_count 6
		.amdhsa_user_sgpr_private_segment_buffer 1
		.amdhsa_user_sgpr_dispatch_ptr 0
		.amdhsa_user_sgpr_queue_ptr 0
		.amdhsa_user_sgpr_kernarg_segment_ptr 1
		.amdhsa_user_sgpr_dispatch_id 0
		.amdhsa_user_sgpr_flat_scratch_init 0
		.amdhsa_user_sgpr_private_segment_size 0
		.amdhsa_wavefront_size32 1
		.amdhsa_uses_dynamic_stack 0
		.amdhsa_system_sgpr_private_segment_wavefront_offset 0
		.amdhsa_system_sgpr_workgroup_id_x 1
		.amdhsa_system_sgpr_workgroup_id_y 0
		.amdhsa_system_sgpr_workgroup_id_z 0
		.amdhsa_system_sgpr_workgroup_info 0
		.amdhsa_system_vgpr_workitem_id 0
		.amdhsa_next_free_vgpr 45
		.amdhsa_next_free_sgpr 23
		.amdhsa_reserve_vcc 1
		.amdhsa_reserve_flat_scratch 0
		.amdhsa_float_round_mode_32 0
		.amdhsa_float_round_mode_16_64 0
		.amdhsa_float_denorm_mode_32 3
		.amdhsa_float_denorm_mode_16_64 3
		.amdhsa_dx10_clamp 1
		.amdhsa_ieee_mode 1
		.amdhsa_fp16_overflow 0
		.amdhsa_workgroup_processor_mode 1
		.amdhsa_memory_ordered 1
		.amdhsa_forward_progress 0
		.amdhsa_shared_vgpr_count 0
		.amdhsa_exception_fp_ieee_invalid_op 0
		.amdhsa_exception_fp_denorm_src 0
		.amdhsa_exception_fp_ieee_div_zero 0
		.amdhsa_exception_fp_ieee_overflow 0
		.amdhsa_exception_fp_ieee_underflow 0
		.amdhsa_exception_fp_ieee_inexact 0
		.amdhsa_exception_int_div_zero 0
	.end_amdhsa_kernel
	.text
.Lfunc_end0:
	.size	fft_rtc_fwd_len192_factors_6_4_4_2_wgs_256_tpt_32_sp_op_CI_CI_sbrc_z_xy_diag_dirReg, .Lfunc_end0-fft_rtc_fwd_len192_factors_6_4_4_2_wgs_256_tpt_32_sp_op_CI_CI_sbrc_z_xy_diag_dirReg
                                        ; -- End function
	.section	.AMDGPU.csdata,"",@progbits
; Kernel info:
; codeLenInByte = 3764
; NumSgprs: 25
; NumVgprs: 45
; ScratchSize: 0
; MemoryBound: 0
; FloatMode: 240
; IeeeMode: 1
; LDSByteSize: 0 bytes/workgroup (compile time only)
; SGPRBlocks: 3
; VGPRBlocks: 5
; NumSGPRsForWavesPerEU: 25
; NumVGPRsForWavesPerEU: 45
; Occupancy: 16
; WaveLimiterHint : 1
; COMPUTE_PGM_RSRC2:SCRATCH_EN: 0
; COMPUTE_PGM_RSRC2:USER_SGPR: 6
; COMPUTE_PGM_RSRC2:TRAP_HANDLER: 0
; COMPUTE_PGM_RSRC2:TGID_X_EN: 1
; COMPUTE_PGM_RSRC2:TGID_Y_EN: 0
; COMPUTE_PGM_RSRC2:TGID_Z_EN: 0
; COMPUTE_PGM_RSRC2:TIDIG_COMP_CNT: 0
	.text
	.p2alignl 6, 3214868480
	.fill 48, 4, 3214868480
	.type	__hip_cuid_a7d4a2d32a1e7470,@object ; @__hip_cuid_a7d4a2d32a1e7470
	.section	.bss,"aw",@nobits
	.globl	__hip_cuid_a7d4a2d32a1e7470
__hip_cuid_a7d4a2d32a1e7470:
	.byte	0                               ; 0x0
	.size	__hip_cuid_a7d4a2d32a1e7470, 1

	.ident	"AMD clang version 19.0.0git (https://github.com/RadeonOpenCompute/llvm-project roc-6.4.0 25133 c7fe45cf4b819c5991fe208aaa96edf142730f1d)"
	.section	".note.GNU-stack","",@progbits
	.addrsig
	.addrsig_sym __hip_cuid_a7d4a2d32a1e7470
	.amdgpu_metadata
---
amdhsa.kernels:
  - .args:
      - .actual_access:  read_only
        .address_space:  global
        .offset:         0
        .size:           8
        .value_kind:     global_buffer
      - .offset:         8
        .size:           8
        .value_kind:     by_value
      - .actual_access:  read_only
        .address_space:  global
        .offset:         16
        .size:           8
        .value_kind:     global_buffer
      - .actual_access:  read_only
        .address_space:  global
        .offset:         24
        .size:           8
        .value_kind:     global_buffer
      - .actual_access:  read_only
        .address_space:  global
        .offset:         32
        .size:           8
        .value_kind:     global_buffer
      - .offset:         40
        .size:           8
        .value_kind:     by_value
      - .actual_access:  read_only
        .address_space:  global
        .offset:         48
        .size:           8
        .value_kind:     global_buffer
      - .actual_access:  read_only
        .address_space:  global
        .offset:         56
        .size:           8
        .value_kind:     global_buffer
      - .offset:         64
        .size:           4
        .value_kind:     by_value
      - .actual_access:  read_only
        .address_space:  global
        .offset:         72
        .size:           8
        .value_kind:     global_buffer
      - .actual_access:  read_only
        .address_space:  global
        .offset:         80
        .size:           8
        .value_kind:     global_buffer
      - .actual_access:  read_only
        .address_space:  global
        .offset:         88
        .size:           8
        .value_kind:     global_buffer
      - .actual_access:  write_only
        .address_space:  global
        .offset:         96
        .size:           8
        .value_kind:     global_buffer
    .group_segment_fixed_size: 0
    .kernarg_segment_align: 8
    .kernarg_segment_size: 104
    .language:       OpenCL C
    .language_version:
      - 2
      - 0
    .max_flat_workgroup_size: 256
    .name:           fft_rtc_fwd_len192_factors_6_4_4_2_wgs_256_tpt_32_sp_op_CI_CI_sbrc_z_xy_diag_dirReg
    .private_segment_fixed_size: 0
    .sgpr_count:     25
    .sgpr_spill_count: 0
    .symbol:         fft_rtc_fwd_len192_factors_6_4_4_2_wgs_256_tpt_32_sp_op_CI_CI_sbrc_z_xy_diag_dirReg.kd
    .uniform_work_group_size: 1
    .uses_dynamic_stack: false
    .vgpr_count:     45
    .vgpr_spill_count: 0
    .wavefront_size: 32
    .workgroup_processor_mode: 1
amdhsa.target:   amdgcn-amd-amdhsa--gfx1030
amdhsa.version:
  - 1
  - 2
...

	.end_amdgpu_metadata
